;; amdgpu-corpus repo=ROCm/rocFFT kind=compiled arch=gfx1201 opt=O3
	.text
	.amdgcn_target "amdgcn-amd-amdhsa--gfx1201"
	.amdhsa_code_object_version 6
	.protected	fft_rtc_fwd_len352_factors_11_2_16_wgs_64_tpt_32_dp_ip_CI_unitstride_sbrr_C2R_dirReg ; -- Begin function fft_rtc_fwd_len352_factors_11_2_16_wgs_64_tpt_32_dp_ip_CI_unitstride_sbrr_C2R_dirReg
	.globl	fft_rtc_fwd_len352_factors_11_2_16_wgs_64_tpt_32_dp_ip_CI_unitstride_sbrr_C2R_dirReg
	.p2align	8
	.type	fft_rtc_fwd_len352_factors_11_2_16_wgs_64_tpt_32_dp_ip_CI_unitstride_sbrr_C2R_dirReg,@function
fft_rtc_fwd_len352_factors_11_2_16_wgs_64_tpt_32_dp_ip_CI_unitstride_sbrr_C2R_dirReg: ; @fft_rtc_fwd_len352_factors_11_2_16_wgs_64_tpt_32_dp_ip_CI_unitstride_sbrr_C2R_dirReg
; %bb.0:
	s_clause 0x2
	s_load_b128 s[4:7], s[0:1], 0x0
	s_load_b64 s[8:9], s[0:1], 0x50
	s_load_b64 s[10:11], s[0:1], 0x18
	v_lshrrev_b32_e32 v1, 5, v0
	v_mov_b32_e32 v3, 0
	s_delay_alu instid0(VALU_DEP_2) | instskip(SKIP_2) | instid1(VALU_DEP_4)
	v_lshl_or_b32 v5, ttmp9, 1, v1
	v_mov_b32_e32 v1, 0
	v_mov_b32_e32 v2, 0
	;; [unrolled: 1-line block ×3, first 2 shown]
	s_wait_kmcnt 0x0
	v_cmp_lt_u64_e64 s2, s[6:7], 2
	s_delay_alu instid0(VALU_DEP_1)
	s_and_b32 vcc_lo, exec_lo, s2
	s_cbranch_vccnz .LBB0_8
; %bb.1:
	s_load_b64 s[2:3], s[0:1], 0x10
	v_mov_b32_e32 v1, 0
	v_mov_b32_e32 v2, 0
	s_add_nc_u64 s[12:13], s[10:11], 8
	s_mov_b64 s[14:15], 1
	s_wait_kmcnt 0x0
	s_add_nc_u64 s[16:17], s[2:3], 8
	s_mov_b32 s3, 0
.LBB0_2:                                ; =>This Inner Loop Header: Depth=1
	s_load_b64 s[18:19], s[16:17], 0x0
                                        ; implicit-def: $vgpr7_vgpr8
	s_mov_b32 s2, exec_lo
	s_wait_kmcnt 0x0
	v_or_b32_e32 v4, s19, v6
	s_delay_alu instid0(VALU_DEP_1)
	v_cmpx_ne_u64_e32 0, v[3:4]
	s_wait_alu 0xfffe
	s_xor_b32 s20, exec_lo, s2
	s_cbranch_execz .LBB0_4
; %bb.3:                                ;   in Loop: Header=BB0_2 Depth=1
	s_cvt_f32_u32 s2, s18
	s_cvt_f32_u32 s21, s19
	s_sub_nc_u64 s[24:25], 0, s[18:19]
	s_wait_alu 0xfffe
	s_delay_alu instid0(SALU_CYCLE_1) | instskip(SKIP_1) | instid1(SALU_CYCLE_2)
	s_fmamk_f32 s2, s21, 0x4f800000, s2
	s_wait_alu 0xfffe
	v_s_rcp_f32 s2, s2
	s_delay_alu instid0(TRANS32_DEP_1) | instskip(SKIP_1) | instid1(SALU_CYCLE_2)
	s_mul_f32 s2, s2, 0x5f7ffffc
	s_wait_alu 0xfffe
	s_mul_f32 s21, s2, 0x2f800000
	s_wait_alu 0xfffe
	s_delay_alu instid0(SALU_CYCLE_2) | instskip(SKIP_1) | instid1(SALU_CYCLE_2)
	s_trunc_f32 s21, s21
	s_wait_alu 0xfffe
	s_fmamk_f32 s2, s21, 0xcf800000, s2
	s_cvt_u32_f32 s23, s21
	s_wait_alu 0xfffe
	s_delay_alu instid0(SALU_CYCLE_1) | instskip(SKIP_1) | instid1(SALU_CYCLE_2)
	s_cvt_u32_f32 s22, s2
	s_wait_alu 0xfffe
	s_mul_u64 s[26:27], s[24:25], s[22:23]
	s_wait_alu 0xfffe
	s_mul_hi_u32 s29, s22, s27
	s_mul_i32 s28, s22, s27
	s_mul_hi_u32 s2, s22, s26
	s_mul_i32 s30, s23, s26
	s_wait_alu 0xfffe
	s_add_nc_u64 s[28:29], s[2:3], s[28:29]
	s_mul_hi_u32 s21, s23, s26
	s_mul_hi_u32 s31, s23, s27
	s_add_co_u32 s2, s28, s30
	s_wait_alu 0xfffe
	s_add_co_ci_u32 s2, s29, s21
	s_mul_i32 s26, s23, s27
	s_add_co_ci_u32 s27, s31, 0
	s_wait_alu 0xfffe
	s_add_nc_u64 s[26:27], s[2:3], s[26:27]
	s_wait_alu 0xfffe
	v_add_co_u32 v4, s2, s22, s26
	s_delay_alu instid0(VALU_DEP_1) | instskip(SKIP_1) | instid1(VALU_DEP_1)
	s_cmp_lg_u32 s2, 0
	s_add_co_ci_u32 s23, s23, s27
	v_readfirstlane_b32 s22, v4
	s_wait_alu 0xfffe
	s_delay_alu instid0(VALU_DEP_1)
	s_mul_u64 s[24:25], s[24:25], s[22:23]
	s_wait_alu 0xfffe
	s_mul_hi_u32 s27, s22, s25
	s_mul_i32 s26, s22, s25
	s_mul_hi_u32 s2, s22, s24
	s_mul_i32 s28, s23, s24
	s_wait_alu 0xfffe
	s_add_nc_u64 s[26:27], s[2:3], s[26:27]
	s_mul_hi_u32 s21, s23, s24
	s_mul_hi_u32 s22, s23, s25
	s_wait_alu 0xfffe
	s_add_co_u32 s2, s26, s28
	s_add_co_ci_u32 s2, s27, s21
	s_mul_i32 s24, s23, s25
	s_add_co_ci_u32 s25, s22, 0
	s_wait_alu 0xfffe
	s_add_nc_u64 s[24:25], s[2:3], s[24:25]
	s_wait_alu 0xfffe
	v_add_co_u32 v4, s2, v4, s24
	s_delay_alu instid0(VALU_DEP_1) | instskip(SKIP_1) | instid1(VALU_DEP_1)
	s_cmp_lg_u32 s2, 0
	s_add_co_ci_u32 s2, s23, s25
	v_mul_hi_u32 v13, v5, v4
	s_wait_alu 0xfffe
	v_mad_co_u64_u32 v[7:8], null, v5, s2, 0
	v_mad_co_u64_u32 v[9:10], null, v6, v4, 0
	;; [unrolled: 1-line block ×3, first 2 shown]
	s_delay_alu instid0(VALU_DEP_3) | instskip(SKIP_1) | instid1(VALU_DEP_4)
	v_add_co_u32 v4, vcc_lo, v13, v7
	s_wait_alu 0xfffd
	v_add_co_ci_u32_e32 v7, vcc_lo, 0, v8, vcc_lo
	s_delay_alu instid0(VALU_DEP_2) | instskip(SKIP_1) | instid1(VALU_DEP_2)
	v_add_co_u32 v4, vcc_lo, v4, v9
	s_wait_alu 0xfffd
	v_add_co_ci_u32_e32 v4, vcc_lo, v7, v10, vcc_lo
	s_wait_alu 0xfffd
	v_add_co_ci_u32_e32 v7, vcc_lo, 0, v12, vcc_lo
	s_delay_alu instid0(VALU_DEP_2) | instskip(SKIP_1) | instid1(VALU_DEP_2)
	v_add_co_u32 v4, vcc_lo, v4, v11
	s_wait_alu 0xfffd
	v_add_co_ci_u32_e32 v9, vcc_lo, 0, v7, vcc_lo
	s_delay_alu instid0(VALU_DEP_2) | instskip(SKIP_1) | instid1(VALU_DEP_3)
	v_mul_lo_u32 v10, s19, v4
	v_mad_co_u64_u32 v[7:8], null, s18, v4, 0
	v_mul_lo_u32 v11, s18, v9
	s_delay_alu instid0(VALU_DEP_2) | instskip(NEXT) | instid1(VALU_DEP_2)
	v_sub_co_u32 v7, vcc_lo, v5, v7
	v_add3_u32 v8, v8, v11, v10
	s_delay_alu instid0(VALU_DEP_1) | instskip(SKIP_1) | instid1(VALU_DEP_1)
	v_sub_nc_u32_e32 v10, v6, v8
	s_wait_alu 0xfffd
	v_subrev_co_ci_u32_e64 v10, s2, s19, v10, vcc_lo
	v_add_co_u32 v11, s2, v4, 2
	s_wait_alu 0xf1ff
	v_add_co_ci_u32_e64 v12, s2, 0, v9, s2
	v_sub_co_u32 v13, s2, v7, s18
	v_sub_co_ci_u32_e32 v8, vcc_lo, v6, v8, vcc_lo
	s_wait_alu 0xf1ff
	v_subrev_co_ci_u32_e64 v10, s2, 0, v10, s2
	s_delay_alu instid0(VALU_DEP_3) | instskip(NEXT) | instid1(VALU_DEP_3)
	v_cmp_le_u32_e32 vcc_lo, s18, v13
	v_cmp_eq_u32_e64 s2, s19, v8
	s_wait_alu 0xfffd
	v_cndmask_b32_e64 v13, 0, -1, vcc_lo
	v_cmp_le_u32_e32 vcc_lo, s19, v10
	s_wait_alu 0xfffd
	v_cndmask_b32_e64 v14, 0, -1, vcc_lo
	v_cmp_le_u32_e32 vcc_lo, s18, v7
	;; [unrolled: 3-line block ×3, first 2 shown]
	s_wait_alu 0xfffd
	v_cndmask_b32_e64 v15, 0, -1, vcc_lo
	v_cmp_eq_u32_e32 vcc_lo, s19, v10
	s_wait_alu 0xf1ff
	s_delay_alu instid0(VALU_DEP_2)
	v_cndmask_b32_e64 v7, v15, v7, s2
	s_wait_alu 0xfffd
	v_cndmask_b32_e32 v10, v14, v13, vcc_lo
	v_add_co_u32 v13, vcc_lo, v4, 1
	s_wait_alu 0xfffd
	v_add_co_ci_u32_e32 v14, vcc_lo, 0, v9, vcc_lo
	s_delay_alu instid0(VALU_DEP_3) | instskip(SKIP_2) | instid1(VALU_DEP_3)
	v_cmp_ne_u32_e32 vcc_lo, 0, v10
	s_wait_alu 0xfffd
	v_cndmask_b32_e32 v10, v13, v11, vcc_lo
	v_cndmask_b32_e32 v8, v14, v12, vcc_lo
	v_cmp_ne_u32_e32 vcc_lo, 0, v7
	s_wait_alu 0xfffd
	s_delay_alu instid0(VALU_DEP_2)
	v_dual_cndmask_b32 v7, v4, v10 :: v_dual_cndmask_b32 v8, v9, v8
.LBB0_4:                                ;   in Loop: Header=BB0_2 Depth=1
	s_wait_alu 0xfffe
	s_and_not1_saveexec_b32 s2, s20
	s_cbranch_execz .LBB0_6
; %bb.5:                                ;   in Loop: Header=BB0_2 Depth=1
	v_cvt_f32_u32_e32 v4, s18
	s_sub_co_i32 s20, 0, s18
	s_delay_alu instid0(VALU_DEP_1) | instskip(NEXT) | instid1(TRANS32_DEP_1)
	v_rcp_iflag_f32_e32 v4, v4
	v_mul_f32_e32 v4, 0x4f7ffffe, v4
	s_delay_alu instid0(VALU_DEP_1) | instskip(SKIP_1) | instid1(VALU_DEP_1)
	v_cvt_u32_f32_e32 v4, v4
	s_wait_alu 0xfffe
	v_mul_lo_u32 v7, s20, v4
	s_delay_alu instid0(VALU_DEP_1) | instskip(NEXT) | instid1(VALU_DEP_1)
	v_mul_hi_u32 v7, v4, v7
	v_add_nc_u32_e32 v4, v4, v7
	s_delay_alu instid0(VALU_DEP_1) | instskip(NEXT) | instid1(VALU_DEP_1)
	v_mul_hi_u32 v4, v5, v4
	v_mul_lo_u32 v7, v4, s18
	v_add_nc_u32_e32 v8, 1, v4
	s_delay_alu instid0(VALU_DEP_2) | instskip(NEXT) | instid1(VALU_DEP_1)
	v_sub_nc_u32_e32 v7, v5, v7
	v_subrev_nc_u32_e32 v9, s18, v7
	v_cmp_le_u32_e32 vcc_lo, s18, v7
	s_wait_alu 0xfffd
	s_delay_alu instid0(VALU_DEP_2) | instskip(NEXT) | instid1(VALU_DEP_1)
	v_dual_cndmask_b32 v7, v7, v9 :: v_dual_cndmask_b32 v4, v4, v8
	v_cmp_le_u32_e32 vcc_lo, s18, v7
	s_delay_alu instid0(VALU_DEP_2) | instskip(SKIP_1) | instid1(VALU_DEP_1)
	v_add_nc_u32_e32 v8, 1, v4
	s_wait_alu 0xfffd
	v_dual_cndmask_b32 v7, v4, v8 :: v_dual_mov_b32 v8, v3
.LBB0_6:                                ;   in Loop: Header=BB0_2 Depth=1
	s_wait_alu 0xfffe
	s_or_b32 exec_lo, exec_lo, s2
	s_load_b64 s[20:21], s[12:13], 0x0
	s_delay_alu instid0(VALU_DEP_1)
	v_mul_lo_u32 v4, v8, s18
	v_mul_lo_u32 v11, v7, s19
	v_mad_co_u64_u32 v[9:10], null, v7, s18, 0
	s_add_nc_u64 s[14:15], s[14:15], 1
	s_add_nc_u64 s[12:13], s[12:13], 8
	s_wait_alu 0xfffe
	v_cmp_ge_u64_e64 s2, s[14:15], s[6:7]
	s_add_nc_u64 s[16:17], s[16:17], 8
	s_delay_alu instid0(VALU_DEP_2) | instskip(NEXT) | instid1(VALU_DEP_3)
	v_add3_u32 v4, v10, v11, v4
	v_sub_co_u32 v5, vcc_lo, v5, v9
	s_wait_alu 0xfffd
	s_delay_alu instid0(VALU_DEP_2) | instskip(SKIP_3) | instid1(VALU_DEP_2)
	v_sub_co_ci_u32_e32 v4, vcc_lo, v6, v4, vcc_lo
	s_and_b32 vcc_lo, exec_lo, s2
	s_wait_kmcnt 0x0
	v_mul_lo_u32 v6, s21, v5
	v_mul_lo_u32 v4, s20, v4
	v_mad_co_u64_u32 v[1:2], null, s20, v5, v[1:2]
	s_delay_alu instid0(VALU_DEP_1)
	v_add3_u32 v2, v6, v2, v4
	s_wait_alu 0xfffe
	s_cbranch_vccnz .LBB0_9
; %bb.7:                                ;   in Loop: Header=BB0_2 Depth=1
	v_dual_mov_b32 v5, v7 :: v_dual_mov_b32 v6, v8
	s_branch .LBB0_2
.LBB0_8:
	v_dual_mov_b32 v8, v6 :: v_dual_mov_b32 v7, v5
.LBB0_9:
	s_lshl_b64 s[2:3], s[6:7], 3
	v_and_b32_e32 v64, 31, v0
	s_wait_alu 0xfffe
	s_add_nc_u64 s[2:3], s[10:11], s[2:3]
	s_load_b64 s[2:3], s[2:3], 0x0
	s_load_b64 s[0:1], s[0:1], 0x20
	s_wait_kmcnt 0x0
	v_mad_co_u64_u32 v[3:4], null, s2, v7, v[1:2]
	v_and_b32_e32 v1, 32, v0
	v_mul_lo_u32 v5, s2, v8
	v_mul_lo_u32 v6, s3, v7
	s_delay_alu instid0(VALU_DEP_3) | instskip(NEXT) | instid1(VALU_DEP_2)
	v_cmp_ne_u32_e32 vcc_lo, 0, v1
	v_add3_u32 v4, v6, v4, v5
	s_wait_alu 0xfffd
	v_cndmask_b32_e64 v2, 0, 0x161, vcc_lo
	v_cmp_gt_u64_e32 vcc_lo, s[0:1], v[7:8]
	s_delay_alu instid0(VALU_DEP_3) | instskip(NEXT) | instid1(VALU_DEP_3)
	v_lshlrev_b64_e32 v[66:67], 4, v[3:4]
	v_lshlrev_b32_e32 v52, 4, v2
	s_and_saveexec_b32 s1, vcc_lo
	s_cbranch_execz .LBB0_13
; %bb.10:
	v_lshlrev_b32_e32 v3, 4, v64
	s_delay_alu instid0(VALU_DEP_3) | instskip(SKIP_3) | instid1(VALU_DEP_2)
	v_add_co_u32 v0, s0, s8, v66
	s_wait_alu 0xf1ff
	v_add_co_ci_u32_e64 v1, s0, s9, v67, s0
	s_mov_b32 s2, exec_lo
	v_add_co_u32 v44, s0, v0, v3
	s_wait_alu 0xf1ff
	s_delay_alu instid0(VALU_DEP_2)
	v_add_co_ci_u32_e64 v45, s0, 0, v1, s0
	v_add3_u32 v3, 0, v52, v3
	s_clause 0xa
	global_load_b128 v[4:7], v[44:45], off
	global_load_b128 v[8:11], v[44:45], off offset:512
	global_load_b128 v[12:15], v[44:45], off offset:1024
	;; [unrolled: 1-line block ×10, first 2 shown]
	s_wait_loadcnt 0xa
	ds_store_b128 v3, v[4:7]
	s_wait_loadcnt 0x9
	ds_store_b128 v3, v[8:11] offset:512
	s_wait_loadcnt 0x8
	ds_store_b128 v3, v[12:15] offset:1024
	;; [unrolled: 2-line block ×10, first 2 shown]
	v_cmpx_eq_u32_e32 31, v64
	s_cbranch_execz .LBB0_12
; %bb.11:
	global_load_b128 v[4:7], v[0:1], off offset:5632
	v_mov_b32_e32 v64, 31
	s_wait_loadcnt 0x0
	ds_store_b128 v3, v[4:7] offset:5136
.LBB0_12:
	s_wait_alu 0xfffe
	s_or_b32 exec_lo, exec_lo, s2
.LBB0_13:
	s_wait_alu 0xfffe
	s_or_b32 exec_lo, exec_lo, s1
	v_lshl_add_u32 v68, v2, 4, 0
	v_lshlrev_b32_e32 v10, 4, v64
	global_wb scope:SCOPE_SE
	s_wait_dscnt 0x0
	s_barrier_signal -1
	s_barrier_wait -1
	global_inv scope:SCOPE_SE
	v_add_nc_u32_e32 v69, v68, v10
	v_sub_nc_u32_e32 v11, v68, v10
	v_cmp_ne_u32_e64 s0, 0, v64
                                        ; implicit-def: $vgpr4_vgpr5
	ds_load_b64 v[6:7], v69
	ds_load_b64 v[8:9], v11 offset:5632
	s_wait_dscnt 0x0
	v_add_f64_e32 v[0:1], v[6:7], v[8:9]
	v_add_f64_e64 v[2:3], v[6:7], -v[8:9]
	s_and_saveexec_b32 s1, s0
	s_wait_alu 0xfffe
	s_xor_b32 s0, exec_lo, s1
	s_cbranch_execz .LBB0_15
; %bb.14:
	global_load_b128 v[2:5], v10, s[4:5] offset:5456
	ds_load_b64 v[0:1], v11 offset:5640
	ds_load_b64 v[12:13], v69 offset:8
	v_add_f64_e32 v[14:15], v[6:7], v[8:9]
	v_add_f64_e64 v[16:17], v[6:7], -v[8:9]
	v_mov_b32_e32 v65, 0
	s_wait_dscnt 0x0
	v_add_f64_e32 v[6:7], v[0:1], v[12:13]
	v_add_f64_e64 v[0:1], v[12:13], -v[0:1]
	s_wait_loadcnt 0x0
	s_delay_alu instid0(VALU_DEP_4) | instskip(SKIP_1) | instid1(VALU_DEP_3)
	v_fma_f64 v[8:9], v[16:17], v[4:5], v[14:15]
	v_fma_f64 v[12:13], -v[16:17], v[4:5], v[14:15]
	v_fma_f64 v[14:15], v[6:7], v[4:5], -v[0:1]
	v_fma_f64 v[4:5], v[6:7], v[4:5], v[0:1]
	s_delay_alu instid0(VALU_DEP_4) | instskip(NEXT) | instid1(VALU_DEP_4)
	v_fma_f64 v[0:1], -v[6:7], v[2:3], v[8:9]
	v_fma_f64 v[6:7], v[6:7], v[2:3], v[12:13]
	s_delay_alu instid0(VALU_DEP_4) | instskip(NEXT) | instid1(VALU_DEP_4)
	v_fma_f64 v[8:9], v[16:17], v[2:3], v[14:15]
	v_fma_f64 v[2:3], v[16:17], v[2:3], v[4:5]
	v_dual_mov_b32 v4, v64 :: v_dual_mov_b32 v5, v65
	ds_store_b128 v11, v[6:9] offset:5632
.LBB0_15:
	s_wait_alu 0xfffe
	s_and_not1_saveexec_b32 s0, s0
	s_cbranch_execz .LBB0_17
; %bb.16:
	ds_load_b128 v[4:7], v68 offset:2816
	s_wait_dscnt 0x0
	v_add_f64_e32 v[12:13], v[4:5], v[4:5]
	v_mul_f64_e32 v[14:15], -2.0, v[6:7]
	v_mov_b32_e32 v4, 0
	v_mov_b32_e32 v5, 0
	ds_store_b128 v68, v[12:15] offset:2816
.LBB0_17:
	s_wait_alu 0xfffe
	s_or_b32 exec_lo, exec_lo, s0
	v_lshlrev_b64_e32 v[4:5], 4, v[4:5]
	s_add_nc_u64 s[0:1], s[4:5], 0x1550
	v_or_b32_e32 v40, 0xa0, v64
	s_wait_alu 0xfffe
	s_delay_alu instid0(VALU_DEP_2)
	v_add_co_u32 v4, s0, s0, v4
	s_wait_alu 0xf1ff
	v_add_co_ci_u32_e64 v5, s0, s1, v5, s0
	s_mov_b32 s1, exec_lo
	s_clause 0x1
	global_load_b128 v[6:9], v[4:5], off offset:512
	global_load_b128 v[12:15], v[4:5], off offset:1024
	ds_store_b128 v69, v[0:3]
	ds_load_b128 v[0:3], v69 offset:512
	ds_load_b128 v[16:19], v11 offset:5120
	global_load_b128 v[20:23], v[4:5], off offset:1536
	s_wait_dscnt 0x0
	v_add_f64_e32 v[24:25], v[0:1], v[16:17]
	v_add_f64_e32 v[26:27], v[18:19], v[2:3]
	v_add_f64_e64 v[28:29], v[0:1], -v[16:17]
	v_add_f64_e64 v[0:1], v[2:3], -v[18:19]
	s_wait_loadcnt 0x2
	s_delay_alu instid0(VALU_DEP_2) | instskip(NEXT) | instid1(VALU_DEP_2)
	v_fma_f64 v[2:3], v[28:29], v[8:9], v[24:25]
	v_fma_f64 v[16:17], v[26:27], v[8:9], v[0:1]
	v_fma_f64 v[18:19], -v[28:29], v[8:9], v[24:25]
	v_fma_f64 v[8:9], v[26:27], v[8:9], -v[0:1]
	s_delay_alu instid0(VALU_DEP_4) | instskip(NEXT) | instid1(VALU_DEP_4)
	v_fma_f64 v[0:1], -v[26:27], v[6:7], v[2:3]
	v_fma_f64 v[2:3], v[28:29], v[6:7], v[16:17]
	s_delay_alu instid0(VALU_DEP_4) | instskip(NEXT) | instid1(VALU_DEP_4)
	v_fma_f64 v[16:17], v[26:27], v[6:7], v[18:19]
	v_fma_f64 v[18:19], v[28:29], v[6:7], v[8:9]
	ds_store_b128 v69, v[0:3] offset:512
	ds_store_b128 v11, v[16:19] offset:5120
	ds_load_b128 v[0:3], v69 offset:1024
	ds_load_b128 v[6:9], v11 offset:4608
	global_load_b128 v[16:19], v[4:5], off offset:2048
	s_wait_dscnt 0x0
	v_add_f64_e32 v[24:25], v[0:1], v[6:7]
	v_add_f64_e32 v[26:27], v[8:9], v[2:3]
	v_add_f64_e64 v[28:29], v[0:1], -v[6:7]
	v_add_f64_e64 v[0:1], v[2:3], -v[8:9]
	s_wait_loadcnt 0x2
	s_delay_alu instid0(VALU_DEP_2) | instskip(NEXT) | instid1(VALU_DEP_2)
	v_fma_f64 v[2:3], v[28:29], v[14:15], v[24:25]
	v_fma_f64 v[6:7], v[26:27], v[14:15], v[0:1]
	v_fma_f64 v[8:9], -v[28:29], v[14:15], v[24:25]
	v_fma_f64 v[14:15], v[26:27], v[14:15], -v[0:1]
	s_delay_alu instid0(VALU_DEP_4) | instskip(NEXT) | instid1(VALU_DEP_4)
	v_fma_f64 v[0:1], -v[26:27], v[12:13], v[2:3]
	v_fma_f64 v[2:3], v[28:29], v[12:13], v[6:7]
	s_delay_alu instid0(VALU_DEP_4) | instskip(NEXT) | instid1(VALU_DEP_4)
	v_fma_f64 v[6:7], v[26:27], v[12:13], v[8:9]
	v_fma_f64 v[8:9], v[28:29], v[12:13], v[14:15]
	ds_store_b128 v69, v[0:3] offset:1024
	ds_store_b128 v11, v[6:9] offset:4608
	ds_load_b128 v[0:3], v69 offset:1536
	ds_load_b128 v[6:9], v11 offset:4096
	s_wait_dscnt 0x0
	v_add_f64_e32 v[12:13], v[0:1], v[6:7]
	v_add_f64_e32 v[14:15], v[8:9], v[2:3]
	v_add_f64_e64 v[24:25], v[0:1], -v[6:7]
	v_add_f64_e64 v[0:1], v[2:3], -v[8:9]
	s_wait_loadcnt 0x1
	s_delay_alu instid0(VALU_DEP_2) | instskip(NEXT) | instid1(VALU_DEP_2)
	v_fma_f64 v[2:3], v[24:25], v[22:23], v[12:13]
	v_fma_f64 v[6:7], v[14:15], v[22:23], v[0:1]
	v_fma_f64 v[8:9], -v[24:25], v[22:23], v[12:13]
	v_fma_f64 v[12:13], v[14:15], v[22:23], -v[0:1]
	s_delay_alu instid0(VALU_DEP_4) | instskip(NEXT) | instid1(VALU_DEP_4)
	v_fma_f64 v[0:1], -v[14:15], v[20:21], v[2:3]
	v_fma_f64 v[2:3], v[24:25], v[20:21], v[6:7]
	s_delay_alu instid0(VALU_DEP_4) | instskip(NEXT) | instid1(VALU_DEP_4)
	v_fma_f64 v[6:7], v[14:15], v[20:21], v[8:9]
	v_fma_f64 v[8:9], v[24:25], v[20:21], v[12:13]
	ds_store_b128 v69, v[0:3] offset:1536
	ds_store_b128 v11, v[6:9] offset:4096
	ds_load_b128 v[0:3], v69 offset:2048
	ds_load_b128 v[6:9], v11 offset:3584
	s_wait_dscnt 0x0
	v_add_f64_e32 v[12:13], v[0:1], v[6:7]
	v_add_f64_e32 v[14:15], v[8:9], v[2:3]
	v_add_f64_e64 v[20:21], v[0:1], -v[6:7]
	v_add_f64_e64 v[0:1], v[2:3], -v[8:9]
	s_wait_loadcnt 0x0
	s_delay_alu instid0(VALU_DEP_2) | instskip(NEXT) | instid1(VALU_DEP_2)
	v_fma_f64 v[2:3], v[20:21], v[18:19], v[12:13]
	v_fma_f64 v[6:7], v[14:15], v[18:19], v[0:1]
	v_fma_f64 v[8:9], -v[20:21], v[18:19], v[12:13]
	v_fma_f64 v[12:13], v[14:15], v[18:19], -v[0:1]
	s_delay_alu instid0(VALU_DEP_4) | instskip(NEXT) | instid1(VALU_DEP_4)
	v_fma_f64 v[0:1], -v[14:15], v[16:17], v[2:3]
	v_fma_f64 v[2:3], v[20:21], v[16:17], v[6:7]
	s_delay_alu instid0(VALU_DEP_4) | instskip(NEXT) | instid1(VALU_DEP_4)
	v_fma_f64 v[6:7], v[14:15], v[16:17], v[8:9]
	v_fma_f64 v[8:9], v[20:21], v[16:17], v[12:13]
	ds_store_b128 v69, v[0:3] offset:2048
	ds_store_b128 v11, v[6:9] offset:3584
	v_cmpx_gt_u32_e32 0xb0, v40
	s_cbranch_execz .LBB0_19
; %bb.18:
	global_load_b128 v[0:3], v[4:5], off offset:2560
	ds_load_b128 v[4:7], v69 offset:2560
	ds_load_b128 v[12:15], v11 offset:3072
	s_wait_dscnt 0x0
	v_add_f64_e32 v[8:9], v[4:5], v[12:13]
	v_add_f64_e32 v[16:17], v[14:15], v[6:7]
	v_add_f64_e64 v[12:13], v[4:5], -v[12:13]
	v_add_f64_e64 v[4:5], v[6:7], -v[14:15]
	s_wait_loadcnt 0x0
	s_delay_alu instid0(VALU_DEP_2) | instskip(NEXT) | instid1(VALU_DEP_2)
	v_fma_f64 v[6:7], v[12:13], v[2:3], v[8:9]
	v_fma_f64 v[14:15], v[16:17], v[2:3], v[4:5]
	v_fma_f64 v[8:9], -v[12:13], v[2:3], v[8:9]
	v_fma_f64 v[18:19], v[16:17], v[2:3], -v[4:5]
	s_delay_alu instid0(VALU_DEP_4) | instskip(NEXT) | instid1(VALU_DEP_4)
	v_fma_f64 v[2:3], -v[16:17], v[0:1], v[6:7]
	v_fma_f64 v[4:5], v[12:13], v[0:1], v[14:15]
	s_delay_alu instid0(VALU_DEP_4) | instskip(NEXT) | instid1(VALU_DEP_4)
	v_fma_f64 v[6:7], v[16:17], v[0:1], v[8:9]
	v_fma_f64 v[8:9], v[12:13], v[0:1], v[18:19]
	ds_store_b128 v69, v[2:5] offset:2560
	ds_store_b128 v11, v[6:9] offset:3072
.LBB0_19:
	s_wait_alu 0xfffe
	s_or_b32 exec_lo, exec_lo, s1
	v_add3_u32 v65, 0, v10, v52
	global_wb scope:SCOPE_SE
	s_wait_dscnt 0x0
	s_barrier_signal -1
	s_barrier_wait -1
	global_inv scope:SCOPE_SE
	global_wb scope:SCOPE_SE
	s_barrier_signal -1
	s_barrier_wait -1
	global_inv scope:SCOPE_SE
	ds_load_b128 v[4:7], v69
	ds_load_b128 v[16:19], v65 offset:512
	ds_load_b128 v[20:23], v65 offset:1024
	;; [unrolled: 1-line block ×9, first 2 shown]
	s_mov_b32 s24, 0xf8bb580b
	s_mov_b32 s25, 0xbfe14ced
	;; [unrolled: 1-line block ×10, first 2 shown]
	ds_load_b128 v[41:44], v65 offset:3584
	s_mov_b32 s2, 0x8764f0ba
	s_mov_b32 s0, 0xd9c712b6
	s_mov_b32 s3, 0x3feaeb8c
	s_wait_dscnt 0x9
	v_add_f64_e32 v[45:46], v[4:5], v[16:17]
	v_add_f64_e32 v[47:48], v[6:7], v[18:19]
	s_wait_dscnt 0x7
	v_add_f64_e64 v[55:56], v[22:23], -v[10:11]
	s_wait_dscnt 0x6
	v_add_f64_e64 v[49:50], v[18:19], -v[2:3]
	v_add_f64_e64 v[53:54], v[16:17], -v[0:1]
	s_wait_dscnt 0x4
	v_add_f64_e64 v[59:60], v[26:27], -v[14:15]
	v_add_f64_e64 v[72:73], v[24:25], -v[12:13]
	v_add_f64_e32 v[86:87], v[24:25], v[12:13]
	v_add_f64_e32 v[88:89], v[26:27], v[14:15]
	v_add_f64_e64 v[57:58], v[20:21], -v[8:9]
	v_add_f64_e32 v[61:62], v[16:17], v[0:1]
	v_add_f64_e32 v[70:71], v[18:19], v[2:3]
	s_mov_b32 s1, 0x3fda9628
	s_mov_b32 s6, 0x640f44db
	;; [unrolled: 1-line block ×6, first 2 shown]
	s_wait_alu 0xfffe
	s_mov_b32 s26, s14
	s_mov_b32 s22, s24
	;; [unrolled: 1-line block ×6, first 2 shown]
	s_wait_dscnt 0x0
	v_add_f64_e32 v[78:79], v[28:29], v[41:42]
	v_add_f64_e64 v[80:81], v[30:31], -v[43:44]
	v_add_f64_e32 v[82:83], v[30:31], v[43:44]
	v_add_f64_e64 v[84:85], v[28:29], -v[41:42]
	s_mov_b32 s17, 0xbfeeb42a
	v_add_f64_e64 v[76:77], v[34:35], -v[38:39]
	v_add_f64_e32 v[16:17], v[32:33], v[36:37]
	v_add_f64_e64 v[74:75], v[32:33], -v[36:37]
	v_add_f64_e32 v[18:19], v[34:35], v[38:39]
	global_wb scope:SCOPE_SE
	s_barrier_signal -1
	s_barrier_wait -1
	global_inv scope:SCOPE_SE
	v_add_f64_e32 v[45:46], v[45:46], v[20:21]
	v_add_f64_e32 v[47:48], v[47:48], v[22:23]
	;; [unrolled: 1-line block ×3, first 2 shown]
	v_mul_f64_e32 v[90:91], s[24:25], v[49:50]
	v_mul_f64_e32 v[92:93], s[24:25], v[53:54]
	;; [unrolled: 1-line block ×9, first 2 shown]
	v_add_f64_e32 v[22:23], v[22:23], v[10:11]
	v_mul_f64_e32 v[106:107], s[28:29], v[55:56]
	v_mul_f64_e32 v[108:109], s[10:11], v[57:58]
	s_wait_alu 0xfffe
	v_mul_f64_e32 v[110:111], s[26:27], v[55:56]
	v_mul_f64_e32 v[114:115], s[18:19], v[57:58]
	;; [unrolled: 1-line block ×23, first 2 shown]
	v_add_f64_e32 v[24:25], v[45:46], v[24:25]
	v_add_f64_e32 v[26:27], v[47:48], v[26:27]
	v_mul_f64_e32 v[45:46], s[12:13], v[53:54]
	v_mul_f64_e32 v[47:48], s[10:11], v[55:56]
	;; [unrolled: 1-line block ×4, first 2 shown]
	v_fma_f64 v[158:159], v[61:62], s[2:3], -v[90:91]
	v_fma_f64 v[160:161], v[70:71], s[2:3], v[92:93]
	v_fma_f64 v[162:163], v[61:62], s[6:7], -v[98:99]
	v_fma_f64 v[164:165], v[70:71], s[6:7], v[100:101]
	v_fma_f64 v[98:99], v[61:62], s[6:7], v[98:99]
	v_fma_f64 v[166:167], v[61:62], s[20:21], -v[102:103]
	v_fma_f64 v[168:169], v[70:71], s[20:21], v[104:105]
	v_fma_f64 v[102:103], v[61:62], s[20:21], v[102:103]
	v_fma_f64 v[170:171], v[61:62], s[16:17], -v[49:50]
	v_fma_f64 v[100:101], v[70:71], s[6:7], -v[100:101]
	;; [unrolled: 1-line block ×3, first 2 shown]
	v_fma_f64 v[49:50], v[61:62], s[16:17], v[49:50]
	s_mov_b32 s11, 0x3fed1bb4
	v_fma_f64 v[174:175], v[20:21], s[16:17], -v[106:107]
	v_fma_f64 v[106:107], v[20:21], s[16:17], v[106:107]
	v_fma_f64 v[176:177], v[20:21], s[6:7], -v[110:111]
	v_fma_f64 v[110:111], v[20:21], s[6:7], v[110:111]
	v_fma_f64 v[180:181], v[22:23], s[20:21], v[114:115]
	s_wait_alu 0xfffe
	v_mul_f64_e32 v[59:60], s[10:11], v[59:60]
	v_mul_f64_e32 v[72:73], s[10:11], v[72:73]
	v_fma_f64 v[182:183], v[22:23], s[16:17], v[116:117]
	v_fma_f64 v[184:185], v[22:23], s[6:7], v[118:119]
	v_fma_f64 v[114:115], v[22:23], s[20:21], -v[114:115]
	v_fma_f64 v[116:117], v[22:23], s[16:17], -v[116:117]
	;; [unrolled: 1-line block ×5, first 2 shown]
	v_fma_f64 v[122:123], v[86:87], s[2:3], v[122:123]
	v_fma_f64 v[188:189], v[86:87], s[20:21], -v[124:125]
	v_fma_f64 v[124:125], v[86:87], s[20:21], v[124:125]
	v_mul_f64_e32 v[80:81], s[10:11], v[80:81]
	v_mul_f64_e32 v[84:85], s[10:11], v[84:85]
	v_add_f64_e32 v[24:25], v[24:25], v[28:29]
	v_add_f64_e32 v[26:27], v[26:27], v[30:31]
	v_fma_f64 v[28:29], v[61:62], s[2:3], v[90:91]
	v_fma_f64 v[30:31], v[70:71], s[2:3], -v[92:93]
	v_fma_f64 v[90:91], v[61:62], s[0:1], -v[94:95]
	v_fma_f64 v[92:93], v[70:71], s[0:1], v[96:97]
	v_fma_f64 v[94:95], v[61:62], s[0:1], v[94:95]
	;; [unrolled: 1-line block ×3, first 2 shown]
	v_fma_f64 v[96:97], v[70:71], s[0:1], -v[96:97]
	v_fma_f64 v[45:46], v[70:71], s[16:17], -v[45:46]
	v_fma_f64 v[61:62], v[20:21], s[0:1], v[47:48]
	v_fma_f64 v[47:48], v[20:21], s[0:1], -v[47:48]
	v_fma_f64 v[70:71], v[20:21], s[20:21], -v[53:54]
	v_fma_f64 v[53:54], v[20:21], s[20:21], v[53:54]
	v_fma_f64 v[178:179], v[20:21], s[2:3], -v[55:56]
	v_fma_f64 v[20:21], v[20:21], s[2:3], v[55:56]
	v_fma_f64 v[55:56], v[22:23], s[0:1], -v[108:109]
	v_add_f64_e32 v[158:159], v[4:5], v[158:159]
	v_add_f64_e32 v[162:163], v[4:5], v[162:163]
	;; [unrolled: 1-line block ×8, first 2 shown]
	v_fma_f64 v[108:109], v[22:23], s[0:1], v[108:109]
	v_add_f64_e32 v[160:161], v[6:7], v[160:161]
	v_add_f64_e32 v[100:101], v[6:7], v[100:101]
	;; [unrolled: 1-line block ×3, first 2 shown]
	v_fma_f64 v[126:127], v[88:89], s[6:7], v[126:127]
	v_mul_f64_e32 v[154:155], s[18:19], v[76:77]
	v_mul_f64_e32 v[156:157], s[14:15], v[76:77]
	;; [unrolled: 1-line block ×3, first 2 shown]
	v_add_f64_e32 v[24:25], v[24:25], v[32:33]
	v_add_f64_e32 v[26:27], v[26:27], v[34:35]
	;; [unrolled: 1-line block ×7, first 2 shown]
	v_fma_f64 v[32:33], v[22:23], s[2:3], v[57:58]
	v_add_f64_e32 v[172:173], v[6:7], v[172:173]
	v_fma_f64 v[22:23], v[22:23], s[2:3], -v[57:58]
	v_add_f64_e32 v[96:97], v[6:7], v[96:97]
	v_add_f64_e32 v[4:5], v[4:5], v[49:50]
	;; [unrolled: 1-line block ×3, first 2 shown]
	v_fma_f64 v[34:35], v[86:87], s[6:7], v[112:113]
	v_fma_f64 v[57:58], v[86:87], s[6:7], -v[112:113]
	v_fma_f64 v[112:113], v[86:87], s[16:17], -v[120:121]
	v_fma_f64 v[45:46], v[88:89], s[16:17], v[128:129]
	v_add_f64_e32 v[47:48], v[47:48], v[158:159]
	v_fma_f64 v[120:121], v[86:87], s[16:17], v[120:121]
	v_add_f64_e32 v[162:163], v[174:175], v[162:163]
	v_add_f64_e32 v[164:165], v[182:183], v[164:165]
	v_fma_f64 v[49:50], v[88:89], s[16:17], -v[128:129]
	v_fma_f64 v[128:129], v[88:89], s[2:3], v[130:131]
	v_add_f64_e32 v[98:99], v[106:107], v[98:99]
	v_add_f64_e32 v[106:107], v[176:177], v[166:167]
	;; [unrolled: 1-line block ×5, first 2 shown]
	v_fma_f64 v[130:131], v[88:89], s[2:3], -v[130:131]
	v_mul_f64_e32 v[158:159], s[12:13], v[74:75]
	v_fma_f64 v[174:175], v[78:79], s[16:17], -v[140:141]
	v_fma_f64 v[140:141], v[78:79], s[16:17], v[140:141]
	v_add_f64_e32 v[24:25], v[24:25], v[36:37]
	v_add_f64_e32 v[26:27], v[26:27], v[38:39]
	;; [unrolled: 1-line block ×6, first 2 shown]
	v_fma_f64 v[36:37], v[88:89], s[20:21], v[132:133]
	v_fma_f64 v[38:39], v[88:89], s[20:21], -v[132:133]
	v_fma_f64 v[132:133], v[86:87], s[0:1], -v[59:60]
	v_fma_f64 v[59:60], v[86:87], s[0:1], v[59:60]
	v_fma_f64 v[86:87], v[88:89], s[0:1], v[72:73]
	v_add_f64_e32 v[53:54], v[53:54], v[94:95]
	v_add_f64_e32 v[32:33], v[32:33], v[172:173]
	;; [unrolled: 1-line block ×5, first 2 shown]
	v_fma_f64 v[72:73], v[88:89], s[0:1], -v[72:73]
	v_add_f64_e32 v[22:23], v[116:117], v[100:101]
	v_add_f64_e32 v[96:97], v[114:115], v[96:97]
	;; [unrolled: 1-line block ×3, first 2 shown]
	v_mul_f64_e32 v[88:89], s[18:19], v[74:75]
	v_mul_f64_e32 v[61:62], s[14:15], v[74:75]
	;; [unrolled: 1-line block ×4, first 2 shown]
	v_fma_f64 v[90:91], v[78:79], s[20:21], v[134:135]
	v_fma_f64 v[134:135], v[78:79], s[20:21], -v[134:135]
	v_fma_f64 v[180:181], v[78:79], s[6:7], -v[136:137]
	v_fma_f64 v[104:105], v[82:83], s[6:7], v[144:145]
	v_fma_f64 v[136:137], v[78:79], s[6:7], v[136:137]
	v_fma_f64 v[94:95], v[78:79], s[2:3], -v[138:139]
	v_fma_f64 v[114:115], v[82:83], s[2:3], v[146:147]
	v_fma_f64 v[138:139], v[78:79], s[2:3], v[138:139]
	v_fma_f64 v[108:109], v[82:83], s[6:7], -v[144:145]
	v_fma_f64 v[116:117], v[82:83], s[2:3], -v[146:147]
	v_fma_f64 v[118:119], v[82:83], s[16:17], v[148:149]
	v_fma_f64 v[144:145], v[16:17], s[16:17], v[150:151]
	v_fma_f64 v[146:147], v[16:17], s[16:17], -v[150:151]
	v_fma_f64 v[150:151], v[16:17], s[2:3], v[152:153]
	v_add_f64_e32 v[24:25], v[24:25], v[41:42]
	v_add_f64_e32 v[26:27], v[26:27], v[43:44]
	v_fma_f64 v[41:42], v[82:83], s[20:21], -v[142:143]
	v_add_f64_e32 v[28:29], v[34:35], v[28:29]
	v_add_f64_e32 v[30:31], v[190:191], v[30:31]
	;; [unrolled: 1-line block ×6, first 2 shown]
	v_fma_f64 v[43:44], v[82:83], s[20:21], v[142:143]
	v_add_f64_e32 v[70:71], v[86:87], v[164:165]
	v_add_f64_e32 v[53:54], v[120:121], v[53:54]
	v_fma_f64 v[142:143], v[82:83], s[16:17], -v[148:149]
	v_fma_f64 v[148:149], v[16:17], s[2:3], -v[152:153]
	;; [unrolled: 1-line block ×3, first 2 shown]
	v_fma_f64 v[78:79], v[78:79], s[0:1], v[80:81]
	v_fma_f64 v[80:81], v[82:83], s[0:1], v[84:85]
	v_fma_f64 v[82:83], v[82:83], s[0:1], -v[84:85]
	v_add_f64_e32 v[59:60], v[59:60], v[98:99]
	v_add_f64_e32 v[84:85], v[186:187], v[106:107]
	;; [unrolled: 1-line block ×12, first 2 shown]
	v_fma_f64 v[49:50], v[16:17], s[6:7], -v[156:157]
	v_fma_f64 v[72:73], v[16:17], s[6:7], v[156:157]
	v_fma_f64 v[96:97], v[18:19], s[20:21], v[88:89]
	v_fma_f64 v[88:89], v[18:19], s[20:21], -v[88:89]
	v_fma_f64 v[100:101], v[18:19], s[6:7], v[61:62]
	v_fma_f64 v[61:62], v[18:19], s[6:7], -v[61:62]
	;; [unrolled: 2-line block ×3, first 2 shown]
	v_add_f64_e32 v[12:13], v[24:25], v[12:13]
	v_add_f64_e32 v[14:15], v[26:27], v[14:15]
	v_fma_f64 v[24:25], v[16:17], s[20:21], -v[154:155]
	v_fma_f64 v[26:27], v[16:17], s[20:21], v[154:155]
	v_fma_f64 v[106:107], v[18:19], s[16:17], -v[158:159]
	v_fma_f64 v[110:111], v[18:19], s[16:17], v[158:159]
	v_fma_f64 v[112:113], v[16:17], s[0:1], -v[76:77]
	v_fma_f64 v[76:77], v[16:17], s[0:1], v[76:77]
	v_fma_f64 v[120:121], v[18:19], s[0:1], v[74:75]
	v_fma_f64 v[74:75], v[18:19], s[0:1], -v[74:75]
	v_add_f64_e32 v[16:17], v[90:91], v[28:29]
	v_add_f64_e32 v[18:19], v[41:42], v[30:31]
	;; [unrolled: 1-line block ×20, first 2 shown]
	v_cmp_gt_u32_e64 s0, 16, v64
	v_add_f64_e32 v[98:99], v[12:13], v[8:9]
	v_add_f64_e32 v[104:105], v[14:15], v[10:11]
	;; [unrolled: 1-line block ×22, first 2 shown]
	v_mad_u32_u24 v41, 0xa0, v64, v65
	v_add_f64_e32 v[0:1], v[98:99], v[0:1]
	v_add_f64_e32 v[2:3], v[104:105], v[2:3]
	ds_store_b128 v41, v[8:11] offset:32
	ds_store_b128 v41, v[16:19] offset:48
	;; [unrolled: 1-line block ×10, first 2 shown]
	ds_store_b128 v41, v[0:3]
	global_wb scope:SCOPE_SE
	s_wait_dscnt 0x0
	s_barrier_signal -1
	s_barrier_wait -1
	global_inv scope:SCOPE_SE
	ds_load_b128 v[0:3], v69
	ds_load_b128 v[16:19], v65 offset:512
	ds_load_b128 v[4:7], v65 offset:3328
	;; [unrolled: 1-line block ×9, first 2 shown]
                                        ; implicit-def: $vgpr30_vgpr31
	s_and_saveexec_b32 s1, s0
	s_cbranch_execz .LBB0_21
; %bb.20:
	ds_load_b128 v[44:47], v65 offset:2560
	ds_load_b128 v[28:31], v65 offset:5376
.LBB0_21:
	s_wait_alu 0xfffe
	s_or_b32 exec_lo, exec_lo, s1
	v_or_b32_e32 v41, 0x80, v64
	v_mul_lo_u16 v43, 0x75, v40
	v_mul_lo_u16 v53, v64, 24
	v_or_b32_e32 v56, 64, v64
	v_or_b32_e32 v54, 32, v64
	v_mul_lo_u16 v42, 0x75, v41
	v_lshrrev_b16 v43, 8, v43
	v_lshrrev_b16 v63, 8, v53
	v_or_b32_e32 v57, 0x60, v64
	v_mul_lo_u16 v59, 0xbb, v56
	v_lshrrev_b16 v42, 8, v42
	v_mul_lo_u16 v58, v54, 47
	v_mul_lo_u16 v61, v63, 11
	;; [unrolled: 1-line block ×3, first 2 shown]
	v_lshrrev_b16 v95, 11, v59
	v_sub_nc_u16 v55, v41, v42
	v_lshrrev_b16 v94, 9, v58
	s_delay_alu instid0(VALU_DEP_4) | instskip(NEXT) | instid1(VALU_DEP_4)
	v_lshrrev_b16 v96, 11, v60
	v_mul_lo_u16 v59, v95, 11
	s_delay_alu instid0(VALU_DEP_4) | instskip(SKIP_3) | instid1(VALU_DEP_4)
	v_lshrrev_b16 v53, 1, v55
	v_sub_nc_u16 v55, v40, v43
	v_mul_lo_u16 v58, v94, 11
	v_mul_lo_u16 v60, v96, 11
	v_and_b32_e32 v53, 0x7f, v53
	s_delay_alu instid0(VALU_DEP_4) | instskip(NEXT) | instid1(VALU_DEP_2)
	v_lshrrev_b16 v55, 1, v55
	v_add_nc_u16 v42, v53, v42
	s_delay_alu instid0(VALU_DEP_2) | instskip(SKIP_1) | instid1(VALU_DEP_3)
	v_and_b32_e32 v53, 0x7f, v55
	v_sub_nc_u16 v55, v64, v61
	v_lshrrev_b16 v42, 3, v42
	s_delay_alu instid0(VALU_DEP_3) | instskip(NEXT) | instid1(VALU_DEP_3)
	v_add_nc_u16 v43, v53, v43
	v_and_b32_e32 v55, 0xff, v55
	s_delay_alu instid0(VALU_DEP_3) | instskip(NEXT) | instid1(VALU_DEP_3)
	v_and_b32_e32 v97, 31, v42
	v_lshrrev_b16 v53, 3, v43
	v_sub_nc_u16 v43, v56, v59
	v_sub_nc_u16 v42, v54, v58
	;; [unrolled: 1-line block ×3, first 2 shown]
	v_mul_lo_u16 v56, v97, 11
	v_mul_lo_u16 v57, v53, 11
	v_and_b32_e32 v43, 0xff, v43
	v_and_b32_e32 v42, 0xff, v42
	;; [unrolled: 1-line block ×3, first 2 shown]
	v_sub_nc_u16 v41, v41, v56
	v_sub_nc_u16 v40, v40, v57
	v_lshlrev_b32_e32 v98, 4, v55
	v_lshlrev_b32_e32 v99, 4, v42
	;; [unrolled: 1-line block ×3, first 2 shown]
	v_and_b32_e32 v59, 0xff, v41
	v_and_b32_e32 v70, 0xff, v40
	v_lshlrev_b32_e32 v101, 4, v54
	s_clause 0x1
	global_load_b128 v[40:43], v98, s[4:5]
	global_load_b128 v[55:58], v99, s[4:5]
	v_lshlrev_b32_e32 v102, 4, v59
	v_lshlrev_b32_e32 v54, 4, v70
	s_clause 0x3
	global_load_b128 v[59:62], v100, s[4:5]
	global_load_b128 v[70:73], v101, s[4:5]
	;; [unrolled: 1-line block ×4, first 2 shown]
	global_wb scope:SCOPE_SE
	s_wait_loadcnt_dscnt 0x0
	s_barrier_signal -1
	s_barrier_wait -1
	global_inv scope:SCOPE_SE
	v_mul_f64_e32 v[82:83], v[26:27], v[42:43]
	v_mul_f64_e32 v[42:43], v[24:25], v[42:43]
	v_mul_f64_e32 v[84:85], v[6:7], v[57:58]
	v_mul_f64_e32 v[57:58], v[4:5], v[57:58]
	v_mul_f64_e32 v[86:87], v[10:11], v[61:62]
	v_mul_f64_e32 v[61:62], v[8:9], v[61:62]
	v_mul_f64_e32 v[88:89], v[22:23], v[72:73]
	v_mul_f64_e32 v[72:73], v[20:21], v[72:73]
	v_mul_f64_e32 v[90:91], v[14:15], v[76:77]
	v_mul_f64_e32 v[76:77], v[12:13], v[76:77]
	v_mul_f64_e32 v[92:93], v[30:31], v[80:81]
	v_mul_f64_e32 v[80:81], v[28:29], v[80:81]
	v_fma_f64 v[24:25], v[24:25], v[40:41], -v[82:83]
	v_fma_f64 v[26:27], v[26:27], v[40:41], v[42:43]
	v_fma_f64 v[40:41], v[4:5], v[55:56], -v[84:85]
	v_fma_f64 v[42:43], v[6:7], v[55:56], v[57:58]
	;; [unrolled: 2-line block ×6, first 2 shown]
	v_add_f64_e64 v[4:5], v[0:1], -v[24:25]
	v_add_f64_e64 v[6:7], v[2:3], -v[26:27]
	;; [unrolled: 1-line block ×12, first 2 shown]
	v_and_b32_e32 v55, 0xffff, v97
	s_delay_alu instid0(VALU_DEP_1) | instskip(NEXT) | instid1(VALU_DEP_1)
	v_mad_u32_u24 v55, 0x160, v55, 0
	v_add3_u32 v55, v55, v102, v52
	v_fma_f64 v[0:1], v[0:1], 2.0, -v[4:5]
	v_fma_f64 v[2:3], v[2:3], 2.0, -v[6:7]
	;; [unrolled: 1-line block ×12, first 2 shown]
	v_and_b32_e32 v48, 0xffff, v63
	v_and_b32_e32 v49, 0xffff, v94
	;; [unrolled: 1-line block ×4, first 2 shown]
	s_delay_alu instid0(VALU_DEP_4) | instskip(NEXT) | instid1(VALU_DEP_4)
	v_mad_u32_u24 v48, 0x160, v48, 0
	v_mad_u32_u24 v49, 0x160, v49, 0
	s_delay_alu instid0(VALU_DEP_4) | instskip(NEXT) | instid1(VALU_DEP_4)
	v_mad_u32_u24 v50, 0x160, v50, 0
	v_mad_u32_u24 v51, 0x160, v51, 0
	s_delay_alu instid0(VALU_DEP_4) | instskip(NEXT) | instid1(VALU_DEP_4)
	v_add3_u32 v48, v48, v98, v52
	v_add3_u32 v49, v49, v99, v52
	s_delay_alu instid0(VALU_DEP_4) | instskip(NEXT) | instid1(VALU_DEP_4)
	v_add3_u32 v50, v50, v100, v52
	v_add3_u32 v51, v51, v101, v52
	ds_store_b128 v48, v[0:3]
	ds_store_b128 v48, v[4:7] offset:176
	ds_store_b128 v49, v[20:23]
	ds_store_b128 v49, v[8:11] offset:176
	;; [unrolled: 2-line block ×5, first 2 shown]
	s_and_saveexec_b32 s1, s0
	s_cbranch_execz .LBB0_23
; %bb.22:
	v_and_b32_e32 v48, 0xffff, v53
	s_delay_alu instid0(VALU_DEP_1) | instskip(NEXT) | instid1(VALU_DEP_1)
	v_mad_u32_u24 v48, 0x160, v48, 0
	v_add3_u32 v48, v48, v54, v52
	ds_store_b128 v48, v[44:47]
	ds_store_b128 v48, v[40:43] offset:176
.LBB0_23:
	s_wait_alu 0xfffe
	s_or_b32 exec_lo, exec_lo, s1
	v_cmp_gt_u32_e64 s0, 22, v64
	global_wb scope:SCOPE_SE
	s_wait_dscnt 0x0
	s_barrier_signal -1
	s_barrier_wait -1
	global_inv scope:SCOPE_SE
                                        ; implicit-def: $vgpr50_vgpr51
                                        ; implicit-def: $vgpr54_vgpr55
                                        ; implicit-def: $vgpr62_vgpr63
                                        ; implicit-def: $vgpr58_vgpr59
	s_and_saveexec_b32 s1, s0
	s_cbranch_execz .LBB0_25
; %bb.24:
	ds_load_b128 v[0:3], v69
	ds_load_b128 v[4:7], v65 offset:352
	ds_load_b128 v[20:23], v65 offset:704
	;; [unrolled: 1-line block ×15, first 2 shown]
.LBB0_25:
	s_wait_alu 0xfffe
	s_or_b32 exec_lo, exec_lo, s1
	global_wb scope:SCOPE_SE
	s_wait_dscnt 0x0
	s_barrier_signal -1
	s_barrier_wait -1
	global_inv scope:SCOPE_SE
	s_and_saveexec_b32 s6, s0
	s_cbranch_execz .LBB0_27
; %bb.26:
	v_subrev_nc_u32_e32 v70, 22, v64
	v_mov_b32_e32 v71, 0
	s_mov_b32 s3, 0xbfe6a09e
	s_mov_b32 s10, 0xa6aea964
	;; [unrolled: 1-line block ×3, first 2 shown]
	v_cndmask_b32_e64 v70, v70, v64, s0
	s_mov_b32 s13, 0xbfd87de2
	s_wait_alu 0xfffe
	s_mov_b32 s12, s10
	s_mov_b32 s15, 0xbfed906b
	v_mul_i32_i24_e32 v70, 15, v70
	s_delay_alu instid0(VALU_DEP_1) | instskip(NEXT) | instid1(VALU_DEP_1)
	v_lshlrev_b64_e32 v[70:71], 4, v[70:71]
	v_add_co_u32 v126, s0, s4, v70
	s_wait_alu 0xf1ff
	s_delay_alu instid0(VALU_DEP_2)
	v_add_co_ci_u32_e64 v127, s0, s5, v71, s0
	s_mov_b32 s0, 0x667f3bcd
	s_mov_b32 s1, 0x3fe6a09e
	s_wait_alu 0xfffe
	s_mov_b32 s2, s0
	s_clause 0xe
	global_load_b128 v[70:73], v[126:127], off offset:192
	global_load_b128 v[74:77], v[126:127], off offset:320
	;; [unrolled: 1-line block ×15, first 2 shown]
	s_mov_b32 s4, 0xcf328d46
	s_mov_b32 s5, 0x3fed906b
	s_wait_alu 0xfffe
	s_mov_b32 s14, s4
	s_wait_loadcnt 0xe
	v_mul_f64_e32 v[130:131], v[22:23], v[72:73]
	v_mul_f64_e32 v[72:73], v[20:21], v[72:73]
	s_wait_loadcnt 0xd
	v_mul_f64_e32 v[132:133], v[46:47], v[76:77]
	v_mul_f64_e32 v[76:77], v[44:45], v[76:77]
	;; [unrolled: 3-line block ×4, first 2 shown]
	s_wait_loadcnt 0xa
	v_mul_f64_e32 v[138:139], v[18:19], v[88:89]
	s_wait_loadcnt 0x9
	v_mul_f64_e32 v[140:141], v[50:51], v[92:93]
	;; [unrolled: 2-line block ×11, first 2 shown]
	v_mul_f64_e32 v[116:117], v[8:9], v[116:117]
	v_mul_f64_e32 v[120:121], v[40:41], v[120:121]
	;; [unrolled: 1-line block ×11, first 2 shown]
	v_fma_f64 v[20:21], v[20:21], v[70:71], -v[130:131]
	v_fma_f64 v[22:23], v[22:23], v[70:71], v[72:73]
	v_fma_f64 v[44:45], v[44:45], v[74:75], -v[132:133]
	v_fma_f64 v[46:47], v[46:47], v[74:75], v[76:77]
	v_fma_f64 v[34:35], v[34:35], v[78:79], v[134:135]
	v_fma_f64 v[32:33], v[32:33], v[78:79], -v[80:81]
	v_fma_f64 v[62:63], v[62:63], v[82:83], v[136:137]
	v_fma_f64 v[60:61], v[60:61], v[82:83], -v[84:85]
	v_fma_f64 v[16:17], v[16:17], v[86:87], -v[138:139]
	;; [unrolled: 1-line block ×3, first 2 shown]
	v_fma_f64 v[38:39], v[38:39], v[94:95], v[142:143]
	v_fma_f64 v[4:5], v[4:5], v[98:99], -v[144:145]
	v_fma_f64 v[28:29], v[28:29], v[102:103], -v[146:147]
	v_fma_f64 v[14:15], v[14:15], v[106:107], v[148:149]
	v_fma_f64 v[54:55], v[54:55], v[110:111], v[150:151]
	v_fma_f64 v[8:9], v[8:9], v[114:115], -v[152:153]
	v_fma_f64 v[40:41], v[40:41], v[118:119], -v[154:155]
	v_fma_f64 v[26:27], v[26:27], v[122:123], v[156:157]
	v_fma_f64 v[58:59], v[58:59], v[126:127], v[158:159]
	;; [unrolled: 1-line block ×4, first 2 shown]
	v_fma_f64 v[24:25], v[24:25], v[122:123], -v[124:125]
	v_fma_f64 v[56:57], v[56:57], v[126:127], -v[128:129]
	v_fma_f64 v[6:7], v[6:7], v[98:99], v[100:101]
	v_fma_f64 v[30:31], v[30:31], v[102:103], v[104:105]
	v_fma_f64 v[12:13], v[12:13], v[106:107], -v[108:109]
	v_fma_f64 v[52:53], v[52:53], v[110:111], -v[112:113]
	;; [unrolled: 1-line block ×3, first 2 shown]
	v_fma_f64 v[18:19], v[18:19], v[86:87], v[88:89]
	v_fma_f64 v[50:51], v[50:51], v[90:91], v[92:93]
	v_add_f64_e64 v[44:45], v[20:21], -v[44:45]
	v_add_f64_e64 v[46:47], v[22:23], -v[46:47]
	v_add_f64_e64 v[62:63], v[34:35], -v[62:63]
	v_add_f64_e64 v[60:61], v[32:33], -v[60:61]
	v_add_f64_e64 v[48:49], v[16:17], -v[48:49]
	v_add_f64_e64 v[38:39], v[2:3], -v[38:39]
	v_add_f64_e64 v[28:29], v[4:5], -v[28:29]
	v_add_f64_e64 v[54:55], v[14:15], -v[54:55]
	v_add_f64_e64 v[40:41], v[8:9], -v[40:41]
	v_add_f64_e64 v[58:59], v[26:27], -v[58:59]
	v_add_f64_e64 v[42:43], v[10:11], -v[42:43]
	v_add_f64_e64 v[56:57], v[24:25], -v[56:57]
	v_add_f64_e64 v[30:31], v[6:7], -v[30:31]
	v_add_f64_e64 v[52:53], v[12:13], -v[52:53]
	v_add_f64_e64 v[36:37], v[0:1], -v[36:37]
	v_add_f64_e64 v[50:51], v[18:19], -v[50:51]
	v_fma_f64 v[20:21], v[20:21], 2.0, -v[44:45]
	v_fma_f64 v[22:23], v[22:23], 2.0, -v[46:47]
	v_add_f64_e64 v[70:71], v[44:45], -v[62:63]
	v_add_f64_e32 v[74:75], v[46:47], v[60:61]
	v_fma_f64 v[32:33], v[32:33], 2.0, -v[60:61]
	v_fma_f64 v[34:35], v[34:35], 2.0, -v[62:63]
	v_add_f64_e32 v[72:73], v[38:39], v[48:49]
	v_fma_f64 v[2:3], v[2:3], 2.0, -v[38:39]
	v_fma_f64 v[4:5], v[4:5], 2.0, -v[28:29]
	v_fma_f64 v[16:17], v[16:17], 2.0, -v[48:49]
	v_add_f64_e64 v[76:77], v[28:29], -v[54:55]
	v_fma_f64 v[14:15], v[14:15], 2.0, -v[54:55]
	v_fma_f64 v[8:9], v[8:9], 2.0, -v[40:41]
	v_add_f64_e64 v[78:79], v[40:41], -v[58:59]
	v_fma_f64 v[26:27], v[26:27], 2.0, -v[58:59]
	v_fma_f64 v[10:11], v[10:11], 2.0, -v[42:43]
	v_add_f64_e32 v[80:81], v[42:43], v[56:57]
	v_fma_f64 v[24:25], v[24:25], 2.0, -v[56:57]
	v_fma_f64 v[6:7], v[6:7], 2.0, -v[30:31]
	v_add_f64_e32 v[82:83], v[30:31], v[52:53]
	v_fma_f64 v[12:13], v[12:13], 2.0, -v[52:53]
	v_fma_f64 v[0:1], v[0:1], 2.0, -v[36:37]
	v_add_f64_e64 v[84:85], v[36:37], -v[50:51]
	v_fma_f64 v[18:19], v[18:19], 2.0, -v[50:51]
	v_fma_f64 v[44:45], v[44:45], 2.0, -v[70:71]
	v_fma_f64 v[46:47], v[46:47], 2.0, -v[74:75]
	v_add_f64_e64 v[32:33], v[20:21], -v[32:33]
	v_add_f64_e64 v[34:35], v[22:23], -v[34:35]
	v_fma_f64 v[38:39], v[38:39], 2.0, -v[72:73]
	v_fma_f64 v[48:49], v[74:75], s[0:1], v[72:73]
	v_fma_f64 v[28:29], v[28:29], 2.0, -v[76:77]
	v_fma_f64 v[40:41], v[40:41], 2.0, -v[78:79]
	v_fma_f64 v[50:51], v[78:79], s[0:1], v[76:77]
	v_add_f64_e64 v[26:27], v[10:11], -v[26:27]
	v_fma_f64 v[42:43], v[42:43], 2.0, -v[80:81]
	v_add_f64_e64 v[24:25], v[8:9], -v[24:25]
	v_add_f64_e64 v[14:15], v[6:7], -v[14:15]
	v_fma_f64 v[30:31], v[30:31], 2.0, -v[82:83]
	v_add_f64_e64 v[12:13], v[4:5], -v[12:13]
	v_fma_f64 v[52:53], v[80:81], s[0:1], v[82:83]
	v_fma_f64 v[36:37], v[36:37], 2.0, -v[84:85]
	v_add_f64_e64 v[18:19], v[2:3], -v[18:19]
	v_fma_f64 v[54:55], v[70:71], s[0:1], v[84:85]
	v_add_f64_e64 v[16:17], v[0:1], -v[16:17]
	v_fma_f64 v[20:21], v[20:21], 2.0, -v[32:33]
	v_fma_f64 v[22:23], v[22:23], 2.0, -v[34:35]
	v_fma_f64 v[56:57], v[46:47], s[2:3], v[38:39]
	v_fma_f64 v[48:49], v[70:71], s[0:1], v[48:49]
	v_fma_f64 v[58:59], v[40:41], s[2:3], v[28:29]
	v_fma_f64 v[50:51], v[80:81], s[2:3], v[50:51]
	v_fma_f64 v[10:11], v[10:11], 2.0, -v[26:27]
	v_fma_f64 v[8:9], v[8:9], 2.0, -v[24:25]
	v_add_f64_e32 v[24:25], v[14:15], v[24:25]
	v_fma_f64 v[6:7], v[6:7], 2.0, -v[14:15]
	v_fma_f64 v[60:61], v[42:43], s[2:3], v[30:31]
	v_fma_f64 v[4:5], v[4:5], 2.0, -v[12:13]
	v_fma_f64 v[52:53], v[78:79], s[0:1], v[52:53]
	v_fma_f64 v[62:63], v[44:45], s[2:3], v[36:37]
	v_add_f64_e32 v[70:71], v[18:19], v[32:33]
	v_fma_f64 v[54:55], v[74:75], s[2:3], v[54:55]
	v_add_f64_e64 v[74:75], v[12:13], -v[26:27]
	v_add_f64_e64 v[78:79], v[16:17], -v[34:35]
	v_fma_f64 v[2:3], v[2:3], 2.0, -v[18:19]
	v_fma_f64 v[0:1], v[0:1], 2.0, -v[16:17]
	v_fma_f64 v[56:57], v[44:45], s[0:1], v[56:57]
	v_fma_f64 v[44:45], v[72:73], 2.0, -v[48:49]
	v_fma_f64 v[26:27], v[42:43], s[2:3], v[58:59]
	v_fma_f64 v[42:43], v[14:15], 2.0, -v[24:25]
	v_add_f64_e64 v[14:15], v[6:7], -v[10:11]
	v_fma_f64 v[32:33], v[40:41], s[0:1], v[60:61]
	v_add_f64_e64 v[8:9], v[4:5], -v[8:9]
	v_fma_f64 v[34:35], v[82:83], 2.0, -v[52:53]
	v_fma_f64 v[58:59], v[46:47], s[2:3], v[62:63]
	v_fma_f64 v[60:61], v[18:19], 2.0, -v[70:71]
	v_fma_f64 v[72:73], v[84:85], 2.0, -v[54:55]
	;; [unrolled: 1-line block ×4, first 2 shown]
	v_add_f64_e64 v[40:41], v[2:3], -v[22:23]
	v_fma_f64 v[22:23], v[76:77], 2.0, -v[50:51]
	v_add_f64_e64 v[46:47], v[0:1], -v[20:21]
	v_fma_f64 v[16:17], v[24:25], s[0:1], v[70:71]
	v_fma_f64 v[18:19], v[74:75], s[0:1], v[78:79]
	;; [unrolled: 1-line block ×4, first 2 shown]
	v_fma_f64 v[76:77], v[38:39], 2.0, -v[56:57]
	v_fma_f64 v[28:29], v[28:29], 2.0, -v[26:27]
	;; [unrolled: 1-line block ×4, first 2 shown]
	v_fma_f64 v[30:31], v[32:33], s[10:11], v[56:57]
	v_fma_f64 v[82:83], v[34:35], s[12:13], v[44:45]
	v_fma_f64 v[80:81], v[36:37], 2.0, -v[58:59]
	v_fma_f64 v[84:85], v[42:43], s[2:3], v[60:61]
	v_fma_f64 v[36:37], v[26:27], s[10:11], v[58:59]
	v_fma_f64 v[96:97], v[4:5], 2.0, -v[8:9]
	v_fma_f64 v[86:87], v[12:13], s[2:3], v[62:63]
	v_fma_f64 v[90:91], v[2:3], 2.0, -v[40:41]
	;; [unrolled: 2-line block ×3, first 2 shown]
	v_fma_f64 v[6:7], v[74:75], s[0:1], v[16:17]
	v_fma_f64 v[4:5], v[24:25], s[2:3], v[18:19]
	;; [unrolled: 1-line block ×4, first 2 shown]
	v_add_f64_e32 v[10:11], v[40:41], v[8:9]
	v_add_f64_e64 v[8:9], v[46:47], -v[14:15]
	s_wait_alu 0xfffe
	v_fma_f64 v[98:99], v[38:39], s[14:15], v[76:77]
	v_fma_f64 v[14:15], v[22:23], s[4:5], v[82:83]
	v_fma_f64 v[100:101], v[28:29], s[14:15], v[80:81]
	v_fma_f64 v[18:19], v[12:13], s[0:1], v[84:85]
	v_fma_f64 v[22:23], v[26:27], s[4:5], v[30:31]
	v_fma_f64 v[20:21], v[32:33], s[14:15], v[36:37]
	v_fma_f64 v[16:17], v[42:43], s[2:3], v[86:87]
	v_add_f64_e64 v[26:27], v[90:91], -v[92:93]
	v_fma_f64 v[12:13], v[34:35], s[14:15], v[88:89]
	v_add_f64_e64 v[24:25], v[94:95], -v[96:97]
	v_fma_f64 v[36:37], v[78:79], 2.0, -v[4:5]
	v_fma_f64 v[34:35], v[48:49], 2.0, -v[2:3]
	;; [unrolled: 1-line block ×5, first 2 shown]
	v_fma_f64 v[30:31], v[28:29], s[10:11], v[98:99]
	v_fma_f64 v[46:47], v[44:45], 2.0, -v[14:15]
	v_fma_f64 v[28:29], v[38:39], s[12:13], v[100:101]
	v_fma_f64 v[38:39], v[70:71], 2.0, -v[6:7]
	v_fma_f64 v[50:51], v[60:61], 2.0, -v[18:19]
	;; [unrolled: 1-line block ×10, first 2 shown]
	ds_store_b128 v65, v[36:39] offset:2112
	ds_store_b128 v65, v[32:35] offset:2464
	;; [unrolled: 1-line block ×12, first 2 shown]
	ds_store_b128 v69, v[56:59]
	ds_store_b128 v65, v[60:63] offset:352
	ds_store_b128 v65, v[4:7] offset:4928
	;; [unrolled: 1-line block ×3, first 2 shown]
.LBB0_27:
	s_wait_alu 0xfffe
	s_or_b32 exec_lo, exec_lo, s6
	global_wb scope:SCOPE_SE
	s_wait_dscnt 0x0
	s_barrier_signal -1
	s_barrier_wait -1
	global_inv scope:SCOPE_SE
	s_and_saveexec_b32 s0, vcc_lo
	s_cbranch_execz .LBB0_29
; %bb.28:
	v_lshl_add_u32 v28, v64, 4, v68
	v_dual_mov_b32 v65, 0 :: v_dual_add_nc_u32 v8, 32, v64
	v_add_co_u32 v30, vcc_lo, s8, v66
	ds_load_b128 v[0:3], v28
	ds_load_b128 v[4:7], v28 offset:512
	v_dual_mov_b32 v9, v65 :: v_dual_add_nc_u32 v12, 64, v64
	v_lshlrev_b64_e32 v[10:11], 4, v[64:65]
	s_wait_alu 0xfffd
	v_add_co_ci_u32_e32 v31, vcc_lo, s9, v67, vcc_lo
	s_delay_alu instid0(VALU_DEP_3) | instskip(SKIP_1) | instid1(VALU_DEP_4)
	v_lshlrev_b64_e32 v[8:9], 4, v[8:9]
	v_dual_mov_b32 v13, v65 :: v_dual_add_nc_u32 v14, 0x60, v64
	v_add_co_u32 v10, vcc_lo, v30, v10
	s_wait_alu 0xfffd
	v_add_co_ci_u32_e32 v11, vcc_lo, v31, v11, vcc_lo
	s_delay_alu instid0(VALU_DEP_4)
	v_add_co_u32 v8, vcc_lo, v30, v8
	s_wait_alu 0xfffd
	v_add_co_ci_u32_e32 v9, vcc_lo, v31, v9, vcc_lo
	v_lshlrev_b64_e32 v[12:13], 4, v[12:13]
	v_mov_b32_e32 v15, v65
	v_dual_mov_b32 v23, v65 :: v_dual_add_nc_u32 v24, 0xc0, v64
	s_wait_dscnt 0x1
	global_store_b128 v[10:11], v[0:3], off
	s_wait_dscnt 0x0
	global_store_b128 v[8:9], v[4:7], off
	v_dual_mov_b32 v9, v65 :: v_dual_add_nc_u32 v8, 0x80, v64
	v_add_nc_u32_e32 v22, 0xa0, v64
	ds_load_b128 v[0:3], v28 offset:1024
	ds_load_b128 v[4:7], v28 offset:1536
	v_add_co_u32 v16, vcc_lo, v30, v12
	s_wait_alu 0xfffd
	v_add_co_ci_u32_e32 v17, vcc_lo, v31, v13, vcc_lo
	v_lshlrev_b64_e32 v[18:19], 4, v[14:15]
	v_lshlrev_b64_e32 v[20:21], 4, v[8:9]
	ds_load_b128 v[8:11], v28 offset:2048
	ds_load_b128 v[12:15], v28 offset:2560
	v_lshlrev_b64_e32 v[22:23], 4, v[22:23]
	v_mov_b32_e32 v25, v65
	v_add_co_u32 v18, vcc_lo, v30, v18
	s_wait_alu 0xfffd
	v_add_co_ci_u32_e32 v19, vcc_lo, v31, v19, vcc_lo
	v_add_co_u32 v20, vcc_lo, v30, v20
	s_wait_alu 0xfffd
	v_add_co_ci_u32_e32 v21, vcc_lo, v31, v21, vcc_lo
	v_add_co_u32 v22, vcc_lo, v30, v22
	s_wait_dscnt 0x3
	global_store_b128 v[16:17], v[0:3], off
	s_wait_dscnt 0x2
	global_store_b128 v[18:19], v[4:7], off
	v_dual_mov_b32 v3, v65 :: v_dual_add_nc_u32 v2, 0xe0, v64
	s_wait_alu 0xfffd
	v_add_co_ci_u32_e32 v23, vcc_lo, v31, v23, vcc_lo
	v_lshlrev_b64_e32 v[0:1], 4, v[24:25]
	s_wait_dscnt 0x1
	global_store_b128 v[20:21], v[8:11], off
	s_wait_dscnt 0x0
	global_store_b128 v[22:23], v[12:15], off
	v_add_nc_u32_e32 v10, 0x100, v64
	v_lshlrev_b64_e32 v[8:9], 4, v[2:3]
	v_dual_mov_b32 v11, v65 :: v_dual_add_nc_u32 v24, 0x120, v64
	v_add_co_u32 v20, vcc_lo, v30, v0
	s_wait_alu 0xfffd
	v_add_co_ci_u32_e32 v21, vcc_lo, v31, v1, vcc_lo
	s_delay_alu instid0(VALU_DEP_4)
	v_add_co_u32 v22, vcc_lo, v30, v8
	ds_load_b128 v[0:3], v28 offset:3072
	ds_load_b128 v[4:7], v28 offset:3584
	s_wait_alu 0xfffd
	v_add_co_ci_u32_e32 v23, vcc_lo, v31, v9, vcc_lo
	v_lshlrev_b64_e32 v[26:27], 4, v[10:11]
	ds_load_b128 v[8:11], v28 offset:4096
	ds_load_b128 v[12:15], v28 offset:4608
	;; [unrolled: 1-line block ×3, first 2 shown]
	v_add_nc_u32_e32 v64, 0x140, v64
	v_lshlrev_b64_e32 v[24:25], 4, v[24:25]
	v_add_co_u32 v26, vcc_lo, v30, v26
	s_delay_alu instid0(VALU_DEP_3) | instskip(SKIP_2) | instid1(VALU_DEP_4)
	v_lshlrev_b64_e32 v[28:29], 4, v[64:65]
	s_wait_alu 0xfffd
	v_add_co_ci_u32_e32 v27, vcc_lo, v31, v27, vcc_lo
	v_add_co_u32 v24, vcc_lo, v30, v24
	s_wait_alu 0xfffd
	v_add_co_ci_u32_e32 v25, vcc_lo, v31, v25, vcc_lo
	v_add_co_u32 v28, vcc_lo, v30, v28
	s_wait_alu 0xfffd
	v_add_co_ci_u32_e32 v29, vcc_lo, v31, v29, vcc_lo
	s_wait_dscnt 0x4
	global_store_b128 v[20:21], v[0:3], off
	s_wait_dscnt 0x3
	global_store_b128 v[22:23], v[4:7], off
	;; [unrolled: 2-line block ×5, first 2 shown]
.LBB0_29:
	s_nop 0
	s_sendmsg sendmsg(MSG_DEALLOC_VGPRS)
	s_endpgm
	.section	.rodata,"a",@progbits
	.p2align	6, 0x0
	.amdhsa_kernel fft_rtc_fwd_len352_factors_11_2_16_wgs_64_tpt_32_dp_ip_CI_unitstride_sbrr_C2R_dirReg
		.amdhsa_group_segment_fixed_size 0
		.amdhsa_private_segment_fixed_size 0
		.amdhsa_kernarg_size 88
		.amdhsa_user_sgpr_count 2
		.amdhsa_user_sgpr_dispatch_ptr 0
		.amdhsa_user_sgpr_queue_ptr 0
		.amdhsa_user_sgpr_kernarg_segment_ptr 1
		.amdhsa_user_sgpr_dispatch_id 0
		.amdhsa_user_sgpr_private_segment_size 0
		.amdhsa_wavefront_size32 1
		.amdhsa_uses_dynamic_stack 0
		.amdhsa_enable_private_segment 0
		.amdhsa_system_sgpr_workgroup_id_x 1
		.amdhsa_system_sgpr_workgroup_id_y 0
		.amdhsa_system_sgpr_workgroup_id_z 0
		.amdhsa_system_sgpr_workgroup_info 0
		.amdhsa_system_vgpr_workitem_id 0
		.amdhsa_next_free_vgpr 192
		.amdhsa_next_free_sgpr 32
		.amdhsa_reserve_vcc 1
		.amdhsa_float_round_mode_32 0
		.amdhsa_float_round_mode_16_64 0
		.amdhsa_float_denorm_mode_32 3
		.amdhsa_float_denorm_mode_16_64 3
		.amdhsa_fp16_overflow 0
		.amdhsa_workgroup_processor_mode 1
		.amdhsa_memory_ordered 1
		.amdhsa_forward_progress 0
		.amdhsa_round_robin_scheduling 0
		.amdhsa_exception_fp_ieee_invalid_op 0
		.amdhsa_exception_fp_denorm_src 0
		.amdhsa_exception_fp_ieee_div_zero 0
		.amdhsa_exception_fp_ieee_overflow 0
		.amdhsa_exception_fp_ieee_underflow 0
		.amdhsa_exception_fp_ieee_inexact 0
		.amdhsa_exception_int_div_zero 0
	.end_amdhsa_kernel
	.text
.Lfunc_end0:
	.size	fft_rtc_fwd_len352_factors_11_2_16_wgs_64_tpt_32_dp_ip_CI_unitstride_sbrr_C2R_dirReg, .Lfunc_end0-fft_rtc_fwd_len352_factors_11_2_16_wgs_64_tpt_32_dp_ip_CI_unitstride_sbrr_C2R_dirReg
                                        ; -- End function
	.section	.AMDGPU.csdata,"",@progbits
; Kernel info:
; codeLenInByte = 9260
; NumSgprs: 34
; NumVgprs: 192
; ScratchSize: 0
; MemoryBound: 0
; FloatMode: 240
; IeeeMode: 1
; LDSByteSize: 0 bytes/workgroup (compile time only)
; SGPRBlocks: 4
; VGPRBlocks: 23
; NumSGPRsForWavesPerEU: 34
; NumVGPRsForWavesPerEU: 192
; Occupancy: 8
; WaveLimiterHint : 1
; COMPUTE_PGM_RSRC2:SCRATCH_EN: 0
; COMPUTE_PGM_RSRC2:USER_SGPR: 2
; COMPUTE_PGM_RSRC2:TRAP_HANDLER: 0
; COMPUTE_PGM_RSRC2:TGID_X_EN: 1
; COMPUTE_PGM_RSRC2:TGID_Y_EN: 0
; COMPUTE_PGM_RSRC2:TGID_Z_EN: 0
; COMPUTE_PGM_RSRC2:TIDIG_COMP_CNT: 0
	.text
	.p2alignl 7, 3214868480
	.fill 96, 4, 3214868480
	.type	__hip_cuid_620df55a50cc5e81,@object ; @__hip_cuid_620df55a50cc5e81
	.section	.bss,"aw",@nobits
	.globl	__hip_cuid_620df55a50cc5e81
__hip_cuid_620df55a50cc5e81:
	.byte	0                               ; 0x0
	.size	__hip_cuid_620df55a50cc5e81, 1

	.ident	"AMD clang version 19.0.0git (https://github.com/RadeonOpenCompute/llvm-project roc-6.4.0 25133 c7fe45cf4b819c5991fe208aaa96edf142730f1d)"
	.section	".note.GNU-stack","",@progbits
	.addrsig
	.addrsig_sym __hip_cuid_620df55a50cc5e81
	.amdgpu_metadata
---
amdhsa.kernels:
  - .args:
      - .actual_access:  read_only
        .address_space:  global
        .offset:         0
        .size:           8
        .value_kind:     global_buffer
      - .offset:         8
        .size:           8
        .value_kind:     by_value
      - .actual_access:  read_only
        .address_space:  global
        .offset:         16
        .size:           8
        .value_kind:     global_buffer
      - .actual_access:  read_only
        .address_space:  global
        .offset:         24
        .size:           8
        .value_kind:     global_buffer
      - .offset:         32
        .size:           8
        .value_kind:     by_value
      - .actual_access:  read_only
        .address_space:  global
        .offset:         40
        .size:           8
        .value_kind:     global_buffer
      - .actual_access:  read_only
        .address_space:  global
        .offset:         48
        .size:           8
        .value_kind:     global_buffer
      - .offset:         56
        .size:           4
        .value_kind:     by_value
      - .actual_access:  read_only
        .address_space:  global
        .offset:         64
        .size:           8
        .value_kind:     global_buffer
      - .actual_access:  read_only
        .address_space:  global
        .offset:         72
        .size:           8
        .value_kind:     global_buffer
      - .address_space:  global
        .offset:         80
        .size:           8
        .value_kind:     global_buffer
    .group_segment_fixed_size: 0
    .kernarg_segment_align: 8
    .kernarg_segment_size: 88
    .language:       OpenCL C
    .language_version:
      - 2
      - 0
    .max_flat_workgroup_size: 64
    .name:           fft_rtc_fwd_len352_factors_11_2_16_wgs_64_tpt_32_dp_ip_CI_unitstride_sbrr_C2R_dirReg
    .private_segment_fixed_size: 0
    .sgpr_count:     34
    .sgpr_spill_count: 0
    .symbol:         fft_rtc_fwd_len352_factors_11_2_16_wgs_64_tpt_32_dp_ip_CI_unitstride_sbrr_C2R_dirReg.kd
    .uniform_work_group_size: 1
    .uses_dynamic_stack: false
    .vgpr_count:     192
    .vgpr_spill_count: 0
    .wavefront_size: 32
    .workgroup_processor_mode: 1
amdhsa.target:   amdgcn-amd-amdhsa--gfx1201
amdhsa.version:
  - 1
  - 2
...

	.end_amdgpu_metadata
